;; amdgpu-corpus repo=ROCm/rocFFT kind=compiled arch=gfx906 opt=O3
	.text
	.amdgcn_target "amdgcn-amd-amdhsa--gfx906"
	.amdhsa_code_object_version 6
	.protected	fft_rtc_fwd_len128_factors_16_8_wgs_256_tpt_16_halfLds_dp_ip_CI_sbrr_dirReg ; -- Begin function fft_rtc_fwd_len128_factors_16_8_wgs_256_tpt_16_halfLds_dp_ip_CI_sbrr_dirReg
	.globl	fft_rtc_fwd_len128_factors_16_8_wgs_256_tpt_16_halfLds_dp_ip_CI_sbrr_dirReg
	.p2align	8
	.type	fft_rtc_fwd_len128_factors_16_8_wgs_256_tpt_16_halfLds_dp_ip_CI_sbrr_dirReg,@function
fft_rtc_fwd_len128_factors_16_8_wgs_256_tpt_16_halfLds_dp_ip_CI_sbrr_dirReg: ; @fft_rtc_fwd_len128_factors_16_8_wgs_256_tpt_16_halfLds_dp_ip_CI_sbrr_dirReg
; %bb.0:
	s_load_dwordx2 s[14:15], s[4:5], 0x18
	s_load_dwordx4 s[8:11], s[4:5], 0x0
	s_load_dwordx2 s[12:13], s[4:5], 0x50
	v_lshrrev_b32_e32 v77, 4, v0
	v_mov_b32_e32 v3, 0
	s_waitcnt lgkmcnt(0)
	s_load_dwordx2 s[2:3], s[14:15], 0x0
	v_cmp_lt_u64_e64 s[0:1], s[10:11], 2
	v_mov_b32_e32 v1, 0
	v_lshl_or_b32 v5, s6, 4, v77
	v_mov_b32_e32 v6, v3
	s_and_b64 vcc, exec, s[0:1]
	v_mov_b32_e32 v2, 0
	s_cbranch_vccnz .LBB0_8
; %bb.1:
	s_load_dwordx2 s[0:1], s[4:5], 0x10
	s_add_u32 s6, s14, 8
	s_addc_u32 s7, s15, 0
	v_mov_b32_e32 v1, 0
	v_mov_b32_e32 v2, 0
	s_waitcnt lgkmcnt(0)
	s_add_u32 s16, s0, 8
	s_addc_u32 s17, s1, 0
	s_mov_b64 s[18:19], 1
.LBB0_2:                                ; =>This Inner Loop Header: Depth=1
	s_load_dwordx2 s[20:21], s[16:17], 0x0
                                        ; implicit-def: $vgpr7_vgpr8
	s_waitcnt lgkmcnt(0)
	v_or_b32_e32 v4, s21, v6
	v_cmp_ne_u64_e32 vcc, 0, v[3:4]
	s_and_saveexec_b64 s[0:1], vcc
	s_xor_b64 s[22:23], exec, s[0:1]
	s_cbranch_execz .LBB0_4
; %bb.3:                                ;   in Loop: Header=BB0_2 Depth=1
	v_cvt_f32_u32_e32 v4, s20
	v_cvt_f32_u32_e32 v7, s21
	s_sub_u32 s0, 0, s20
	s_subb_u32 s1, 0, s21
	v_mac_f32_e32 v4, 0x4f800000, v7
	v_rcp_f32_e32 v4, v4
	v_mul_f32_e32 v4, 0x5f7ffffc, v4
	v_mul_f32_e32 v7, 0x2f800000, v4
	v_trunc_f32_e32 v7, v7
	v_mac_f32_e32 v4, 0xcf800000, v7
	v_cvt_u32_f32_e32 v7, v7
	v_cvt_u32_f32_e32 v4, v4
	v_mul_lo_u32 v8, s0, v7
	v_mul_hi_u32 v9, s0, v4
	v_mul_lo_u32 v11, s1, v4
	v_mul_lo_u32 v10, s0, v4
	v_add_u32_e32 v8, v9, v8
	v_add_u32_e32 v8, v8, v11
	v_mul_hi_u32 v9, v4, v10
	v_mul_lo_u32 v11, v4, v8
	v_mul_hi_u32 v13, v4, v8
	v_mul_hi_u32 v12, v7, v10
	v_mul_lo_u32 v10, v7, v10
	v_mul_hi_u32 v14, v7, v8
	v_add_co_u32_e32 v9, vcc, v9, v11
	v_addc_co_u32_e32 v11, vcc, 0, v13, vcc
	v_mul_lo_u32 v8, v7, v8
	v_add_co_u32_e32 v9, vcc, v9, v10
	v_addc_co_u32_e32 v9, vcc, v11, v12, vcc
	v_addc_co_u32_e32 v10, vcc, 0, v14, vcc
	v_add_co_u32_e32 v8, vcc, v9, v8
	v_addc_co_u32_e32 v9, vcc, 0, v10, vcc
	v_add_co_u32_e32 v4, vcc, v4, v8
	v_addc_co_u32_e32 v7, vcc, v7, v9, vcc
	v_mul_lo_u32 v8, s0, v7
	v_mul_hi_u32 v9, s0, v4
	v_mul_lo_u32 v10, s1, v4
	v_mul_lo_u32 v11, s0, v4
	v_add_u32_e32 v8, v9, v8
	v_add_u32_e32 v8, v8, v10
	v_mul_lo_u32 v12, v4, v8
	v_mul_hi_u32 v13, v4, v11
	v_mul_hi_u32 v14, v4, v8
	;; [unrolled: 1-line block ×3, first 2 shown]
	v_mul_lo_u32 v11, v7, v11
	v_mul_hi_u32 v9, v7, v8
	v_add_co_u32_e32 v12, vcc, v13, v12
	v_addc_co_u32_e32 v13, vcc, 0, v14, vcc
	v_mul_lo_u32 v8, v7, v8
	v_add_co_u32_e32 v11, vcc, v12, v11
	v_addc_co_u32_e32 v10, vcc, v13, v10, vcc
	v_addc_co_u32_e32 v9, vcc, 0, v9, vcc
	v_add_co_u32_e32 v8, vcc, v10, v8
	v_addc_co_u32_e32 v9, vcc, 0, v9, vcc
	v_add_co_u32_e32 v4, vcc, v4, v8
	v_addc_co_u32_e32 v9, vcc, v7, v9, vcc
	v_mad_u64_u32 v[7:8], s[0:1], v5, v9, 0
	v_mul_hi_u32 v10, v5, v4
	v_add_co_u32_e32 v11, vcc, v10, v7
	v_addc_co_u32_e32 v12, vcc, 0, v8, vcc
	v_mad_u64_u32 v[7:8], s[0:1], v6, v4, 0
	v_mad_u64_u32 v[9:10], s[0:1], v6, v9, 0
	v_add_co_u32_e32 v4, vcc, v11, v7
	v_addc_co_u32_e32 v4, vcc, v12, v8, vcc
	v_addc_co_u32_e32 v7, vcc, 0, v10, vcc
	v_add_co_u32_e32 v4, vcc, v4, v9
	v_addc_co_u32_e32 v9, vcc, 0, v7, vcc
	v_mul_lo_u32 v10, s21, v4
	v_mul_lo_u32 v11, s20, v9
	v_mad_u64_u32 v[7:8], s[0:1], s20, v4, 0
	v_add3_u32 v8, v8, v11, v10
	v_sub_u32_e32 v10, v6, v8
	v_mov_b32_e32 v11, s21
	v_sub_co_u32_e32 v7, vcc, v5, v7
	v_subb_co_u32_e64 v10, s[0:1], v10, v11, vcc
	v_subrev_co_u32_e64 v11, s[0:1], s20, v7
	v_subbrev_co_u32_e64 v10, s[0:1], 0, v10, s[0:1]
	v_cmp_le_u32_e64 s[0:1], s21, v10
	v_cndmask_b32_e64 v12, 0, -1, s[0:1]
	v_cmp_le_u32_e64 s[0:1], s20, v11
	v_cndmask_b32_e64 v11, 0, -1, s[0:1]
	v_cmp_eq_u32_e64 s[0:1], s21, v10
	v_cndmask_b32_e64 v10, v12, v11, s[0:1]
	v_add_co_u32_e64 v11, s[0:1], 2, v4
	v_addc_co_u32_e64 v12, s[0:1], 0, v9, s[0:1]
	v_add_co_u32_e64 v13, s[0:1], 1, v4
	v_addc_co_u32_e64 v14, s[0:1], 0, v9, s[0:1]
	v_subb_co_u32_e32 v8, vcc, v6, v8, vcc
	v_cmp_ne_u32_e64 s[0:1], 0, v10
	v_cmp_le_u32_e32 vcc, s21, v8
	v_cndmask_b32_e64 v10, v14, v12, s[0:1]
	v_cndmask_b32_e64 v12, 0, -1, vcc
	v_cmp_le_u32_e32 vcc, s20, v7
	v_cndmask_b32_e64 v7, 0, -1, vcc
	v_cmp_eq_u32_e32 vcc, s21, v8
	v_cndmask_b32_e32 v7, v12, v7, vcc
	v_cmp_ne_u32_e32 vcc, 0, v7
	v_cndmask_b32_e64 v7, v13, v11, s[0:1]
	v_cndmask_b32_e32 v8, v9, v10, vcc
	v_cndmask_b32_e32 v7, v4, v7, vcc
.LBB0_4:                                ;   in Loop: Header=BB0_2 Depth=1
	s_andn2_saveexec_b64 s[0:1], s[22:23]
	s_cbranch_execz .LBB0_6
; %bb.5:                                ;   in Loop: Header=BB0_2 Depth=1
	v_cvt_f32_u32_e32 v4, s20
	s_sub_i32 s22, 0, s20
	v_rcp_iflag_f32_e32 v4, v4
	v_mul_f32_e32 v4, 0x4f7ffffe, v4
	v_cvt_u32_f32_e32 v4, v4
	v_mul_lo_u32 v7, s22, v4
	v_mul_hi_u32 v7, v4, v7
	v_add_u32_e32 v4, v4, v7
	v_mul_hi_u32 v4, v5, v4
	v_mul_lo_u32 v7, v4, s20
	v_add_u32_e32 v8, 1, v4
	v_sub_u32_e32 v7, v5, v7
	v_subrev_u32_e32 v9, s20, v7
	v_cmp_le_u32_e32 vcc, s20, v7
	v_cndmask_b32_e32 v7, v7, v9, vcc
	v_cndmask_b32_e32 v4, v4, v8, vcc
	v_add_u32_e32 v8, 1, v4
	v_cmp_le_u32_e32 vcc, s20, v7
	v_cndmask_b32_e32 v7, v4, v8, vcc
	v_mov_b32_e32 v8, v3
.LBB0_6:                                ;   in Loop: Header=BB0_2 Depth=1
	s_or_b64 exec, exec, s[0:1]
	v_mul_lo_u32 v4, v8, s20
	v_mul_lo_u32 v11, v7, s21
	v_mad_u64_u32 v[9:10], s[0:1], v7, s20, 0
	s_load_dwordx2 s[0:1], s[6:7], 0x0
	s_add_u32 s18, s18, 1
	v_add3_u32 v4, v10, v11, v4
	v_sub_co_u32_e32 v5, vcc, v5, v9
	v_subb_co_u32_e32 v4, vcc, v6, v4, vcc
	s_waitcnt lgkmcnt(0)
	v_mul_lo_u32 v4, s0, v4
	v_mul_lo_u32 v6, s1, v5
	v_mad_u64_u32 v[1:2], s[0:1], s0, v5, v[1:2]
	s_addc_u32 s19, s19, 0
	s_add_u32 s6, s6, 8
	v_add3_u32 v2, v6, v2, v4
	v_mov_b32_e32 v4, s10
	v_mov_b32_e32 v5, s11
	s_addc_u32 s7, s7, 0
	v_cmp_ge_u64_e32 vcc, s[18:19], v[4:5]
	s_add_u32 s16, s16, 8
	s_addc_u32 s17, s17, 0
	s_cbranch_vccnz .LBB0_9
; %bb.7:                                ;   in Loop: Header=BB0_2 Depth=1
	v_mov_b32_e32 v5, v7
	v_mov_b32_e32 v6, v8
	s_branch .LBB0_2
.LBB0_8:
	v_mov_b32_e32 v8, v6
	v_mov_b32_e32 v7, v5
.LBB0_9:
	s_lshl_b64 s[0:1], s[10:11], 3
	s_add_u32 s0, s14, s0
	s_addc_u32 s1, s15, s1
	s_load_dwordx2 s[6:7], s[0:1], 0x0
	s_load_dwordx2 s[10:11], s[4:5], 0x20
	v_and_b32_e32 v76, 15, v0
	v_mov_b32_e32 v78, 0
                                        ; implicit-def: $vgpr26_vgpr27
                                        ; implicit-def: $vgpr34_vgpr35
                                        ; implicit-def: $vgpr14_vgpr15
                                        ; implicit-def: $vgpr22_vgpr23
                                        ; implicit-def: $vgpr38_vgpr39
                                        ; implicit-def: $vgpr18_vgpr19
                                        ; implicit-def: $vgpr10_vgpr11
                                        ; implicit-def: $vgpr58_vgpr59
                                        ; implicit-def: $vgpr30_vgpr31
                                        ; implicit-def: $vgpr54_vgpr55
                                        ; implicit-def: $vgpr42_vgpr43
                                        ; implicit-def: $vgpr62_vgpr63
                                        ; implicit-def: $vgpr50_vgpr51
                                        ; implicit-def: $vgpr46_vgpr47
	s_waitcnt lgkmcnt(0)
	v_mul_lo_u32 v3, s6, v8
	v_mul_lo_u32 v4, s7, v7
	v_mad_u64_u32 v[64:65], s[0:1], s6, v7, v[1:2]
	v_cmp_gt_u64_e32 vcc, s[10:11], v[7:8]
                                        ; implicit-def: $vgpr6_vgpr7
	v_add3_u32 v65, v4, v65, v3
                                        ; implicit-def: $vgpr2_vgpr3
	s_and_saveexec_b64 s[4:5], vcc
	s_cbranch_execz .LBB0_13
; %bb.10:
	v_cmp_gt_u32_e64 s[0:1], 8, v76
                                        ; implicit-def: $vgpr0_vgpr1
                                        ; implicit-def: $vgpr44_vgpr45
                                        ; implicit-def: $vgpr48_vgpr49
                                        ; implicit-def: $vgpr60_vgpr61
                                        ; implicit-def: $vgpr40_vgpr41
                                        ; implicit-def: $vgpr52_vgpr53
                                        ; implicit-def: $vgpr28_vgpr29
                                        ; implicit-def: $vgpr56_vgpr57
                                        ; implicit-def: $vgpr8_vgpr9
                                        ; implicit-def: $vgpr16_vgpr17
                                        ; implicit-def: $vgpr36_vgpr37
                                        ; implicit-def: $vgpr20_vgpr21
                                        ; implicit-def: $vgpr4_vgpr5
                                        ; implicit-def: $vgpr12_vgpr13
                                        ; implicit-def: $vgpr32_vgpr33
                                        ; implicit-def: $vgpr24_vgpr25
	s_and_saveexec_b64 s[6:7], s[0:1]
	s_cbranch_execz .LBB0_12
; %bb.11:
	v_mad_u64_u32 v[0:1], s[0:1], s2, v76, 0
	v_or_b32_e32 v7, 8, v76
	v_mad_u64_u32 v[4:5], s[0:1], s2, v7, 0
	v_mad_u64_u32 v[1:2], s[0:1], s3, v76, v[1:2]
	v_lshlrev_b64 v[2:3], 4, v[64:65]
	v_mov_b32_e32 v6, s13
	v_add_co_u32_e64 v8, s[0:1], s12, v2
	v_mov_b32_e32 v2, v5
	v_addc_co_u32_e64 v9, s[0:1], v6, v3, s[0:1]
	v_mad_u64_u32 v[2:3], s[0:1], s3, v7, v[2:3]
	v_or_b32_e32 v3, 16, v76
	v_mad_u64_u32 v[6:7], s[0:1], s2, v3, 0
	v_lshlrev_b64 v[0:1], 4, v[0:1]
	v_mov_b32_e32 v5, v2
	v_add_co_u32_e64 v48, s[0:1], v8, v0
	v_mov_b32_e32 v2, v7
	v_addc_co_u32_e64 v49, s[0:1], v9, v1, s[0:1]
	v_lshlrev_b64 v[0:1], 4, v[4:5]
	v_mad_u64_u32 v[2:3], s[0:1], s3, v3, v[2:3]
	v_or_b32_e32 v5, 24, v76
	v_mad_u64_u32 v[3:4], s[0:1], s2, v5, 0
	v_add_co_u32_e64 v50, s[0:1], v8, v0
	v_mov_b32_e32 v7, v2
	v_mov_b32_e32 v2, v4
	v_addc_co_u32_e64 v51, s[0:1], v9, v1, s[0:1]
	v_lshlrev_b64 v[0:1], 4, v[6:7]
	v_mad_u64_u32 v[4:5], s[0:1], s3, v5, v[2:3]
	v_or_b32_e32 v7, 32, v76
	v_mad_u64_u32 v[5:6], s[0:1], s2, v7, 0
	v_add_co_u32_e64 v66, s[0:1], v8, v0
	v_mov_b32_e32 v2, v6
	v_addc_co_u32_e64 v67, s[0:1], v9, v1, s[0:1]
	v_lshlrev_b64 v[0:1], 4, v[3:4]
	v_mad_u64_u32 v[2:3], s[0:1], s3, v7, v[2:3]
	v_or_b32_e32 v7, 40, v76
	v_mad_u64_u32 v[3:4], s[0:1], s2, v7, 0
	v_add_co_u32_e64 v68, s[0:1], v8, v0
	v_mov_b32_e32 v6, v2
	v_mov_b32_e32 v2, v4
	v_addc_co_u32_e64 v69, s[0:1], v9, v1, s[0:1]
	v_lshlrev_b64 v[0:1], 4, v[5:6]
	v_mad_u64_u32 v[4:5], s[0:1], s3, v7, v[2:3]
	v_or_b32_e32 v7, 48, v76
	v_mad_u64_u32 v[5:6], s[0:1], s2, v7, 0
	;; [unrolled: 15-line block ×6, first 2 shown]
	v_add_co_u32_e64 v88, s[0:1], v8, v0
	v_mov_b32_e32 v2, v6
	v_addc_co_u32_e64 v89, s[0:1], v9, v1, s[0:1]
	v_lshlrev_b64 v[0:1], 4, v[3:4]
	v_mad_u64_u32 v[2:3], s[0:1], s3, v7, v[2:3]
	v_or_b32_e32 v7, 0x78, v76
	v_mad_u64_u32 v[3:4], s[0:1], s2, v7, 0
	v_add_co_u32_e64 v90, s[0:1], v8, v0
	v_mov_b32_e32 v6, v2
	v_mov_b32_e32 v2, v4
	v_addc_co_u32_e64 v91, s[0:1], v9, v1, s[0:1]
	v_lshlrev_b64 v[0:1], 4, v[5:6]
	v_mad_u64_u32 v[4:5], s[0:1], s3, v7, v[2:3]
	v_add_co_u32_e64 v92, s[0:1], v8, v0
	v_addc_co_u32_e64 v93, s[0:1], v9, v1, s[0:1]
	v_lshlrev_b64 v[0:1], 4, v[3:4]
	v_add_co_u32_e64 v94, s[0:1], v8, v0
	v_addc_co_u32_e64 v95, s[0:1], v9, v1, s[0:1]
	global_load_dwordx4 v[0:3], v[48:49], off
	global_load_dwordx4 v[24:27], v[50:51], off
	;; [unrolled: 1-line block ×15, first 2 shown]
                                        ; kill: killed $vgpr88 killed $vgpr89
                                        ; kill: killed $vgpr70 killed $vgpr71
                                        ; kill: killed $vgpr90 killed $vgpr91
                                        ; kill: killed $vgpr72 killed $vgpr73
                                        ; kill: killed $vgpr92 killed $vgpr93
                                        ; kill: killed $vgpr74 killed $vgpr75
                                        ; kill: killed $vgpr78 killed $vgpr79
                                        ; kill: killed $vgpr80 killed $vgpr81
                                        ; kill: killed $vgpr48 killed $vgpr49
                                        ; kill: killed $vgpr82 killed $vgpr83
                                        ; kill: killed $vgpr50 killed $vgpr51
                                        ; kill: killed $vgpr84 killed $vgpr85
                                        ; kill: killed $vgpr66 killed $vgpr67
                                        ; kill: killed $vgpr86 killed $vgpr87
                                        ; kill: killed $vgpr68 killed $vgpr69
	global_load_dwordx4 v[48:51], v[94:95], off
.LBB0_12:
	s_or_b64 exec, exec, s[6:7]
	v_mov_b32_e32 v78, v76
.LBB0_13:
	s_or_b64 exec, exec, s[4:5]
	s_waitcnt vmcnt(5)
	v_add_f64 v[66:67], v[32:33], -v[56:57]
	v_add_f64 v[68:69], v[34:35], -v[58:59]
	s_waitcnt vmcnt(1)
	v_add_f64 v[56:57], v[36:37], -v[60:61]
	v_add_f64 v[58:59], v[38:39], -v[62:63]
	;; [unrolled: 1-line block ×6, first 2 shown]
	v_fma_f64 v[74:75], v[32:33], 2.0, -v[66:67]
	v_fma_f64 v[34:35], v[34:35], 2.0, -v[68:69]
	;; [unrolled: 1-line block ×4, first 2 shown]
	v_add_f64 v[38:39], v[20:21], -v[40:41]
	v_add_f64 v[40:41], v[22:23], -v[42:43]
	v_fma_f64 v[24:25], v[24:25], 2.0, -v[44:45]
	v_fma_f64 v[26:27], v[26:27], 2.0, -v[46:47]
	s_waitcnt vmcnt(0)
	v_add_f64 v[42:43], v[16:17], -v[48:49]
	v_add_f64 v[48:49], v[18:19], -v[50:51]
	;; [unrolled: 1-line block ×3, first 2 shown]
	v_fma_f64 v[62:63], v[12:13], 2.0, -v[28:29]
	v_fma_f64 v[20:21], v[20:21], 2.0, -v[38:39]
	;; [unrolled: 1-line block ×4, first 2 shown]
	v_add_f64 v[40:41], v[44:45], -v[40:41]
	v_fma_f64 v[12:13], v[16:17], 2.0, -v[42:43]
	v_fma_f64 v[16:17], v[18:19], 2.0, -v[48:49]
	v_add_f64 v[79:80], v[38:39], v[46:47]
	v_add_f64 v[38:39], v[28:29], -v[48:49]
	v_add_f64 v[20:21], v[24:25], -v[20:21]
	;; [unrolled: 1-line block ×3, first 2 shown]
	v_add_f64 v[42:43], v[30:31], v[42:43]
	v_add_f64 v[70:71], v[68:69], v[56:57]
	v_add_f64 v[58:59], v[34:35], -v[36:37]
	v_fma_f64 v[18:19], v[66:67], 2.0, -v[50:51]
	v_add_f64 v[36:37], v[62:63], -v[12:13]
	v_add_f64 v[16:17], v[14:15], -v[16:17]
	v_fma_f64 v[12:13], v[24:25], 2.0, -v[20:21]
	v_fma_f64 v[60:61], v[26:27], 2.0, -v[22:23]
	;; [unrolled: 1-line block ×6, first 2 shown]
	s_mov_b32 s0, 0x667f3bcd
	s_mov_b32 s1, 0x3fe6a09e
	;; [unrolled: 1-line block ×4, first 2 shown]
	v_add_f64 v[56:57], v[74:75], -v[32:33]
	v_fma_f64 v[32:33], v[68:69], 2.0, -v[70:71]
	v_fma_f64 v[48:49], v[62:63], 2.0, -v[36:37]
	;; [unrolled: 1-line block ×3, first 2 shown]
	v_mul_f64 v[62:63], v[18:19], s[0:1]
	v_fma_f64 v[18:19], v[26:27], s[4:5], v[44:45]
	v_fma_f64 v[28:29], v[24:25], s[4:5], v[46:47]
	;; [unrolled: 1-line block ×4, first 2 shown]
	v_add_f64 v[16:17], v[20:21], -v[16:17]
	v_add_f64 v[81:82], v[36:37], v[22:23]
	v_mul_f64 v[66:67], v[32:33], s[0:1]
	v_add_f64 v[52:53], v[4:5], -v[52:53]
	v_fma_f64 v[24:25], v[24:25], s[4:5], v[18:19]
	v_fma_f64 v[32:33], v[26:27], s[0:1], v[28:29]
	;; [unrolled: 1-line block ×4, first 2 shown]
	v_fma_f64 v[18:19], v[20:21], 2.0, -v[16:17]
	v_fma_f64 v[20:21], v[22:23], 2.0, -v[81:82]
	v_add_f64 v[54:55], v[6:7], -v[54:55]
	v_mul_f64 v[68:69], v[50:51], s[0:1]
	v_mul_f64 v[70:71], v[70:71], s[0:1]
	v_add_f64 v[36:37], v[12:13], -v[48:49]
	v_add_f64 v[72:73], v[60:61], -v[14:15]
	v_fma_f64 v[28:29], v[44:45], 2.0, -v[24:25]
	v_fma_f64 v[42:43], v[46:47], 2.0, -v[32:33]
	;; [unrolled: 1-line block ×4, first 2 shown]
	v_mul_f64 v[40:41], v[18:19], s[0:1]
	v_mul_f64 v[48:49], v[20:21], s[0:1]
	;; [unrolled: 1-line block ×4, first 2 shown]
	v_lshlrev_b32_e32 v14, 7, v77
	v_cmp_gt_u32_e64 s[0:1], 8, v76
	v_lshlrev_b32_e32 v77, 3, v14
	s_and_saveexec_b64 s[4:5], s[0:1]
	s_cbranch_execz .LBB0_15
; %bb.14:
	v_add_f64 v[8:9], v[0:1], -v[8:9]
	v_fma_f64 v[4:5], v[4:5], 2.0, -v[52:53]
	s_mov_b32 s7, 0x3fed906b
	s_mov_b32 s6, 0xcf328d46
	v_fma_f64 v[79:80], v[12:13], 2.0, -v[36:37]
	s_mov_b32 s10, 0xa6aea964
	s_mov_b32 s11, 0xbfd87de2
	;; [unrolled: 1-line block ×3, first 2 shown]
	v_add_f64 v[14:15], v[8:9], -v[54:55]
	v_fma_f64 v[0:1], v[0:1], 2.0, -v[8:9]
	s_mov_b32 s14, s10
	v_lshlrev_b32_e32 v99, 7, v76
	v_fma_f64 v[8:9], v[8:9], 2.0, -v[14:15]
	v_add_f64 v[16:17], v[68:69], v[14:15]
	v_add_f64 v[4:5], v[0:1], -v[4:5]
	v_add_f64 v[18:19], v[8:9], -v[62:63]
	;; [unrolled: 1-line block ×4, first 2 shown]
	v_fma_f64 v[16:17], v[74:75], 2.0, -v[56:57]
	v_fma_f64 v[0:1], v[0:1], 2.0, -v[4:5]
	v_add_f64 v[74:75], v[18:19], -v[66:67]
	v_fma_f64 v[89:90], v[14:15], 2.0, -v[83:84]
	v_fma_f64 v[4:5], v[4:5], 2.0, -v[87:88]
	v_fma_f64 v[12:13], v[26:27], s[6:7], v[83:84]
	v_add_f64 v[91:92], v[0:1], -v[16:17]
	v_add_f64 v[16:17], v[44:45], v[87:88]
	s_mov_b32 s7, 0xbfed906b
	v_fma_f64 v[8:9], v[8:9], 2.0, -v[74:75]
	v_fma_f64 v[18:19], v[38:39], s[10:11], v[89:90]
	v_add_f64 v[20:21], v[4:5], -v[40:41]
	v_fma_f64 v[81:82], v[24:25], s[14:15], v[74:75]
	v_fma_f64 v[0:1], v[0:1], 2.0, -v[91:92]
	v_fma_f64 v[14:15], v[30:31], s[10:11], v[12:13]
	v_add_f64 v[12:13], v[16:17], -v[50:51]
	v_add_f64 v[16:17], v[91:92], -v[72:73]
	v_fma_f64 v[85:86], v[28:29], s[6:7], v[8:9]
	v_fma_f64 v[22:23], v[46:47], s[6:7], v[18:19]
	v_add_f64 v[20:21], v[20:21], -v[48:49]
	v_fma_f64 v[18:19], v[32:33], s[6:7], v[81:82]
	v_add_f64 v[79:80], v[0:1], -v[79:80]
	v_fma_f64 v[81:82], v[42:43], s[10:11], v[85:86]
	v_fma_f64 v[85:86], v[83:84], 2.0, -v[14:15]
	v_fma_f64 v[83:84], v[87:88], 2.0, -v[12:13]
	;; [unrolled: 1-line block ×8, first 2 shown]
	v_add3_u32 v0, 0, v99, v77
	ds_write_b128 v0, v[83:86] offset:48
	ds_write_b128 v0, v[20:23] offset:80
	;; [unrolled: 1-line block ×6, first 2 shown]
	ds_write_b128 v0, v[95:98]
	ds_write_b128 v0, v[12:15] offset:112
.LBB0_15:
	s_or_b64 exec, exec, s[4:5]
	v_lshlrev_b32_e32 v0, 3, v76
	v_add_u32_e32 v74, 0, v0
	v_add_u32_e32 v8, v74, v77
	s_waitcnt lgkmcnt(0)
	s_barrier
	v_add3_u32 v9, 0, v77, v0
	ds_read2_b64 v[16:19], v8 offset0:16 offset1:32
	ds_read2_b64 v[12:15], v8 offset0:48 offset1:64
	;; [unrolled: 1-line block ×3, first 2 shown]
	ds_read_b64 v[0:1], v9
	ds_read_b64 v[4:5], v8 offset:896
	s_waitcnt lgkmcnt(0)
	s_barrier
	s_and_saveexec_b64 s[4:5], s[0:1]
	s_cbranch_execz .LBB0_17
; %bb.16:
	v_add_f64 v[10:11], v[2:3], -v[10:11]
	v_fma_f64 v[6:7], v[6:7], 2.0, -v[54:55]
	v_fma_f64 v[34:35], v[34:35], 2.0, -v[58:59]
	;; [unrolled: 1-line block ×3, first 2 shown]
	s_mov_b32 s6, 0xa6aea964
	s_mov_b32 s7, 0x3fd87de2
	;; [unrolled: 1-line block ×4, first 2 shown]
	v_add_f64 v[52:53], v[52:53], v[10:11]
	v_fma_f64 v[2:3], v[2:3], 2.0, -v[10:11]
	s_mov_b32 s1, 0xbfed906b
	s_mov_b32 s0, 0xcf328d46
	v_fma_f64 v[10:11], v[10:11], 2.0, -v[52:53]
	v_add_f64 v[6:7], v[2:3], -v[6:7]
	v_add_f64 v[54:55], v[70:71], v[52:53]
	v_mul_u32_u24_e32 v70, 0x78, v76
	v_add_f64 v[66:67], v[10:11], -v[66:67]
	v_add_f64 v[56:57], v[56:57], v[6:7]
	v_add_f64 v[60:61], v[68:69], v[54:55]
	v_fma_f64 v[2:3], v[2:3], 2.0, -v[6:7]
	v_add_f64 v[62:63], v[62:63], v[66:67]
	v_fma_f64 v[6:7], v[6:7], 2.0, -v[56:57]
	v_fma_f64 v[52:53], v[52:53], 2.0, -v[60:61]
	v_add_f64 v[54:55], v[2:3], -v[34:35]
	v_add_f64 v[34:35], v[50:51], v[56:57]
	v_fma_f64 v[10:11], v[10:11], 2.0, -v[62:63]
	v_add_f64 v[48:49], v[6:7], -v[48:49]
	v_fma_f64 v[50:51], v[46:47], s[10:11], v[52:53]
	v_fma_f64 v[32:33], v[32:33], s[6:7], v[62:63]
	v_fma_f64 v[2:3], v[2:3], 2.0, -v[54:55]
	v_add_f64 v[34:35], v[44:45], v[34:35]
	v_fma_f64 v[66:67], v[42:43], s[0:1], v[10:11]
	s_mov_b32 s1, 0x3fed906b
	v_fma_f64 v[68:69], v[30:31], s[0:1], v[60:61]
	v_add_f64 v[30:31], v[36:37], v[54:55]
	v_add_f64 v[46:47], v[40:41], v[48:49]
	v_fma_f64 v[48:49], v[38:39], s[0:1], v[50:51]
	v_fma_f64 v[32:33], v[24:25], s[0:1], v[32:33]
	v_add_f64 v[42:43], v[2:3], -v[58:59]
	v_fma_f64 v[44:45], v[28:29], s[6:7], v[66:67]
	v_fma_f64 v[38:39], v[56:57], 2.0, -v[34:35]
	v_fma_f64 v[36:37], v[26:27], s[6:7], v[68:69]
	v_fma_f64 v[24:25], v[54:55], 2.0, -v[30:31]
	v_fma_f64 v[54:55], v[6:7], 2.0, -v[46:47]
	;; [unrolled: 1-line block ×6, first 2 shown]
	v_add3_u32 v2, v74, v70, v77
	v_fma_f64 v[40:41], v[60:61], 2.0, -v[36:37]
	ds_write_b128 v2, v[46:49] offset:80
	ds_write_b128 v2, v[30:33] offset:96
	;; [unrolled: 1-line block ×5, first 2 shown]
	ds_write_b128 v2, v[50:53]
	ds_write_b128 v2, v[38:41] offset:48
	ds_write_b128 v2, v[34:37] offset:112
.LBB0_17:
	s_or_b64 exec, exec, s[4:5]
	s_waitcnt lgkmcnt(0)
	s_barrier
	s_and_saveexec_b64 s[0:1], vcc
	s_cbranch_execz .LBB0_19
; %bb.18:
	v_mul_u32_u24_e32 v2, 7, v76
	v_lshlrev_b32_e32 v2, 4, v2
	global_load_dwordx4 v[24:27], v2, s[8:9] offset:48
	global_load_dwordx4 v[28:31], v2, s[8:9] offset:16
	;; [unrolled: 1-line block ×3, first 2 shown]
	global_load_dwordx4 v[36:39], v2, s[8:9]
	global_load_dwordx4 v[40:43], v2, s[8:9] offset:64
	global_load_dwordx4 v[44:47], v2, s[8:9] offset:32
	;; [unrolled: 1-line block ×3, first 2 shown]
	ds_read2_b64 v[52:55], v8 offset0:48 offset1:64
	ds_read2_b64 v[56:59], v8 offset0:16 offset1:32
	ds_read2_b64 v[60:63], v8 offset0:80 offset1:96
	ds_read_b64 v[2:3], v9
	ds_read_b64 v[6:7], v8 offset:896
	v_mad_u64_u32 v[8:9], s[6:7], s2, v78, 0
	v_or_b32_e32 v71, 16, v78
	v_or_b32_e32 v72, 32, v78
	v_lshlrev_b64 v[10:11], 4, v[64:65]
	v_or_b32_e32 v73, 48, v78
	v_mad_u64_u32 v[64:65], s[6:7], s2, v71, 0
	v_mad_u64_u32 v[66:67], s[6:7], s2, v72, 0
	;; [unrolled: 1-line block ×3, first 2 shown]
	v_mov_b32_e32 v70, s13
	v_add_co_u32_e32 v77, vcc, s12, v10
	v_mad_u64_u32 v[9:10], s[6:7], s3, v78, v[9:10]
	v_addc_co_u32_e32 v85, vcc, v70, v11, vcc
	v_mov_b32_e32 v10, v65
	v_mov_b32_e32 v11, v67
	;; [unrolled: 1-line block ×3, first 2 shown]
	v_mad_u64_u32 v[69:70], s[6:7], s3, v71, v[10:11]
	v_mad_u64_u32 v[10:11], s[6:7], s3, v72, v[11:12]
	;; [unrolled: 1-line block ×3, first 2 shown]
	v_mov_b32_e32 v65, v69
	v_mov_b32_e32 v67, v10
	v_lshlrev_b64 v[10:11], 4, v[64:65]
	v_lshlrev_b64 v[64:65], 4, v[66:67]
	;; [unrolled: 1-line block ×3, first 2 shown]
	s_mov_b32 s0, 0x667f3bcd
	s_mov_b32 s1, 0x3fe6a09e
	;; [unrolled: 1-line block ×4, first 2 shown]
	v_mov_b32_e32 v69, v70
	s_waitcnt vmcnt(6)
	v_mul_f64 v[66:67], v[14:15], v[26:27]
	s_waitcnt vmcnt(5) lgkmcnt(3)
	v_mul_f64 v[71:72], v[58:59], v[30:31]
	s_waitcnt vmcnt(4) lgkmcnt(2)
	v_mul_f64 v[73:74], v[62:63], v[34:35]
	s_waitcnt vmcnt(3)
	v_mul_f64 v[75:76], v[56:57], v[38:39]
	s_waitcnt vmcnt(2)
	v_mul_f64 v[79:80], v[60:61], v[42:43]
	s_waitcnt vmcnt(1)
	v_mul_f64 v[81:82], v[12:13], v[46:47]
	s_waitcnt vmcnt(0)
	v_mul_f64 v[83:84], v[4:5], v[50:51]
	v_mul_f64 v[38:39], v[16:17], v[38:39]
	;; [unrolled: 1-line block ×4, first 2 shown]
	s_waitcnt lgkmcnt(0)
	v_mul_f64 v[50:51], v[6:7], v[50:51]
	v_mul_f64 v[26:27], v[54:55], v[26:27]
	;; [unrolled: 1-line block ×4, first 2 shown]
	v_fma_f64 v[54:55], v[54:55], v[24:25], v[66:67]
	v_fma_f64 v[18:19], v[18:19], v[28:29], -v[71:72]
	v_fma_f64 v[22:23], v[22:23], v[32:33], -v[73:74]
	;; [unrolled: 1-line block ×4, first 2 shown]
	v_fma_f64 v[52:53], v[52:53], v[44:45], v[81:82]
	v_fma_f64 v[6:7], v[6:7], v[48:49], v[83:84]
	;; [unrolled: 1-line block ×4, first 2 shown]
	v_fma_f64 v[12:13], v[12:13], v[44:45], -v[46:47]
	v_fma_f64 v[4:5], v[4:5], v[48:49], -v[50:51]
	v_fma_f64 v[28:29], v[28:29], v[58:59], v[30:31]
	v_fma_f64 v[30:31], v[32:33], v[62:63], v[34:35]
	v_fma_f64 v[14:15], v[14:15], v[24:25], -v[26:27]
	v_add_co_u32_e32 v32, vcc, v77, v8
	v_add_f64 v[24:25], v[2:3], -v[54:55]
	v_add_f64 v[22:23], v[18:19], -v[22:23]
	v_addc_co_u32_e32 v33, vcc, v85, v9, vcc
	v_add_f64 v[8:9], v[28:29], -v[30:31]
	v_add_f64 v[20:21], v[16:17], -v[20:21]
	;; [unrolled: 1-line block ×6, first 2 shown]
	v_add_f64 v[30:31], v[24:25], v[22:23]
	v_fma_f64 v[2:3], v[2:3], 2.0, -v[24:25]
	v_fma_f64 v[28:29], v[28:29], 2.0, -v[8:9]
	;; [unrolled: 1-line block ×6, first 2 shown]
	v_add_f64 v[22:23], v[26:27], v[4:5]
	v_fma_f64 v[4:5], v[36:37], 2.0, -v[26:27]
	v_fma_f64 v[34:35], v[52:53], 2.0, -v[6:7]
	v_add_f64 v[36:37], v[20:21], -v[6:7]
	v_add_f64 v[38:39], v[14:15], -v[8:9]
	v_add_f64 v[28:29], v[2:3], -v[28:29]
	v_add_f64 v[6:7], v[16:17], -v[12:13]
	v_add_f64 v[40:41], v[0:1], -v[18:19]
	v_fma_f64 v[24:25], v[24:25], 2.0, -v[30:31]
	v_fma_f64 v[12:13], v[26:27], 2.0, -v[22:23]
	v_add_f64 v[8:9], v[4:5], -v[34:35]
	v_fma_f64 v[18:19], v[20:21], 2.0, -v[36:37]
	v_fma_f64 v[20:21], v[14:15], 2.0, -v[38:39]
	v_add_co_u32_e32 v34, vcc, v77, v10
	v_addc_co_u32_e32 v35, vcc, v85, v11, vcc
	v_fma_f64 v[10:11], v[12:13], s[4:5], v[24:25]
	v_fma_f64 v[26:27], v[2:3], 2.0, -v[28:29]
	v_fma_f64 v[4:5], v[4:5], 2.0, -v[8:9]
	;; [unrolled: 1-line block ×4, first 2 shown]
	v_fma_f64 v[16:17], v[18:19], s[4:5], v[20:21]
	v_fma_f64 v[46:47], v[36:37], s[0:1], v[38:39]
	v_add_f64 v[2:3], v[28:29], v[6:7]
	v_add_f64 v[0:1], v[40:41], -v[8:9]
	v_fma_f64 v[6:7], v[18:19], s[0:1], v[10:11]
	v_add_f64 v[10:11], v[26:27], -v[4:5]
	v_fma_f64 v[44:45], v[22:23], s[0:1], v[30:31]
	;; [unrolled: 2-line block ×3, first 2 shown]
	v_fma_f64 v[12:13], v[22:23], s[4:5], v[46:47]
	v_fma_f64 v[18:19], v[28:29], 2.0, -v[2:3]
	v_fma_f64 v[16:17], v[40:41], 2.0, -v[0:1]
	;; [unrolled: 1-line block ×4, first 2 shown]
	v_fma_f64 v[14:15], v[36:37], s[0:1], v[44:45]
	v_fma_f64 v[24:25], v[42:43], 2.0, -v[8:9]
	v_fma_f64 v[20:21], v[20:21], 2.0, -v[4:5]
	v_add_co_u32_e32 v36, vcc, v77, v64
	v_addc_co_u32_e32 v37, vcc, v85, v65, vcc
	global_store_dwordx4 v[32:33], v[24:27], off
	global_store_dwordx4 v[34:35], v[20:23], off
	;; [unrolled: 1-line block ×3, first 2 shown]
	v_or_b32_e32 v20, 64, v78
	v_fma_f64 v[30:31], v[30:31], 2.0, -v[14:15]
	v_fma_f64 v[28:29], v[38:39], 2.0, -v[12:13]
	v_mad_u64_u32 v[18:19], s[0:1], s2, v20, 0
	v_lshlrev_b64 v[16:17], 4, v[68:69]
	v_or_b32_e32 v22, 0x50, v78
	v_mad_u64_u32 v[19:20], s[0:1], s3, v20, v[19:20]
	v_add_co_u32_e32 v16, vcc, v77, v16
	v_addc_co_u32_e32 v17, vcc, v85, v17, vcc
	v_mad_u64_u32 v[20:21], s[0:1], s2, v22, 0
	global_store_dwordx4 v[16:17], v[28:31], off
	v_lshlrev_b64 v[16:17], 4, v[18:19]
	v_mov_b32_e32 v18, v21
	v_add_co_u32_e32 v16, vcc, v77, v16
	v_addc_co_u32_e32 v17, vcc, v85, v17, vcc
	global_store_dwordx4 v[16:17], v[8:11], off
	v_or_b32_e32 v16, 0x60, v78
	v_mad_u64_u32 v[18:19], s[0:1], s3, v22, v[18:19]
	v_mad_u64_u32 v[10:11], s[0:1], s2, v16, 0
	v_mov_b32_e32 v21, v18
	v_or_b32_e32 v19, 0x70, v78
	v_mad_u64_u32 v[16:17], s[0:1], s3, v16, v[11:12]
	v_lshlrev_b64 v[8:9], 4, v[20:21]
	v_mad_u64_u32 v[17:18], s[0:1], s2, v19, 0
	v_add_co_u32_e32 v8, vcc, v77, v8
	v_addc_co_u32_e32 v9, vcc, v85, v9, vcc
	global_store_dwordx4 v[8:9], v[4:7], off
	v_mov_b32_e32 v11, v16
	v_mov_b32_e32 v6, v18
	v_mad_u64_u32 v[6:7], s[0:1], s3, v19, v[6:7]
	v_lshlrev_b64 v[4:5], 4, v[10:11]
	v_add_co_u32_e32 v4, vcc, v77, v4
	v_addc_co_u32_e32 v5, vcc, v85, v5, vcc
	v_mov_b32_e32 v18, v6
	global_store_dwordx4 v[4:5], v[0:3], off
	s_nop 0
	v_lshlrev_b64 v[0:1], 4, v[17:18]
	v_add_co_u32_e32 v0, vcc, v77, v0
	v_addc_co_u32_e32 v1, vcc, v85, v1, vcc
	global_store_dwordx4 v[0:1], v[12:15], off
.LBB0_19:
	s_endpgm
	.section	.rodata,"a",@progbits
	.p2align	6, 0x0
	.amdhsa_kernel fft_rtc_fwd_len128_factors_16_8_wgs_256_tpt_16_halfLds_dp_ip_CI_sbrr_dirReg
		.amdhsa_group_segment_fixed_size 0
		.amdhsa_private_segment_fixed_size 0
		.amdhsa_kernarg_size 88
		.amdhsa_user_sgpr_count 6
		.amdhsa_user_sgpr_private_segment_buffer 1
		.amdhsa_user_sgpr_dispatch_ptr 0
		.amdhsa_user_sgpr_queue_ptr 0
		.amdhsa_user_sgpr_kernarg_segment_ptr 1
		.amdhsa_user_sgpr_dispatch_id 0
		.amdhsa_user_sgpr_flat_scratch_init 0
		.amdhsa_user_sgpr_private_segment_size 0
		.amdhsa_uses_dynamic_stack 0
		.amdhsa_system_sgpr_private_segment_wavefront_offset 0
		.amdhsa_system_sgpr_workgroup_id_x 1
		.amdhsa_system_sgpr_workgroup_id_y 0
		.amdhsa_system_sgpr_workgroup_id_z 0
		.amdhsa_system_sgpr_workgroup_info 0
		.amdhsa_system_vgpr_workitem_id 0
		.amdhsa_next_free_vgpr 100
		.amdhsa_next_free_sgpr 24
		.amdhsa_reserve_vcc 1
		.amdhsa_reserve_flat_scratch 0
		.amdhsa_float_round_mode_32 0
		.amdhsa_float_round_mode_16_64 0
		.amdhsa_float_denorm_mode_32 3
		.amdhsa_float_denorm_mode_16_64 3
		.amdhsa_dx10_clamp 1
		.amdhsa_ieee_mode 1
		.amdhsa_fp16_overflow 0
		.amdhsa_exception_fp_ieee_invalid_op 0
		.amdhsa_exception_fp_denorm_src 0
		.amdhsa_exception_fp_ieee_div_zero 0
		.amdhsa_exception_fp_ieee_overflow 0
		.amdhsa_exception_fp_ieee_underflow 0
		.amdhsa_exception_fp_ieee_inexact 0
		.amdhsa_exception_int_div_zero 0
	.end_amdhsa_kernel
	.text
.Lfunc_end0:
	.size	fft_rtc_fwd_len128_factors_16_8_wgs_256_tpt_16_halfLds_dp_ip_CI_sbrr_dirReg, .Lfunc_end0-fft_rtc_fwd_len128_factors_16_8_wgs_256_tpt_16_halfLds_dp_ip_CI_sbrr_dirReg
                                        ; -- End function
	.section	.AMDGPU.csdata,"",@progbits
; Kernel info:
; codeLenInByte = 5020
; NumSgprs: 28
; NumVgprs: 100
; ScratchSize: 0
; MemoryBound: 1
; FloatMode: 240
; IeeeMode: 1
; LDSByteSize: 0 bytes/workgroup (compile time only)
; SGPRBlocks: 3
; VGPRBlocks: 24
; NumSGPRsForWavesPerEU: 28
; NumVGPRsForWavesPerEU: 100
; Occupancy: 2
; WaveLimiterHint : 1
; COMPUTE_PGM_RSRC2:SCRATCH_EN: 0
; COMPUTE_PGM_RSRC2:USER_SGPR: 6
; COMPUTE_PGM_RSRC2:TRAP_HANDLER: 0
; COMPUTE_PGM_RSRC2:TGID_X_EN: 1
; COMPUTE_PGM_RSRC2:TGID_Y_EN: 0
; COMPUTE_PGM_RSRC2:TGID_Z_EN: 0
; COMPUTE_PGM_RSRC2:TIDIG_COMP_CNT: 0
	.type	__hip_cuid_332a19114a0b6de8,@object ; @__hip_cuid_332a19114a0b6de8
	.section	.bss,"aw",@nobits
	.globl	__hip_cuid_332a19114a0b6de8
__hip_cuid_332a19114a0b6de8:
	.byte	0                               ; 0x0
	.size	__hip_cuid_332a19114a0b6de8, 1

	.ident	"AMD clang version 19.0.0git (https://github.com/RadeonOpenCompute/llvm-project roc-6.4.0 25133 c7fe45cf4b819c5991fe208aaa96edf142730f1d)"
	.section	".note.GNU-stack","",@progbits
	.addrsig
	.addrsig_sym __hip_cuid_332a19114a0b6de8
	.amdgpu_metadata
---
amdhsa.kernels:
  - .args:
      - .actual_access:  read_only
        .address_space:  global
        .offset:         0
        .size:           8
        .value_kind:     global_buffer
      - .offset:         8
        .size:           8
        .value_kind:     by_value
      - .actual_access:  read_only
        .address_space:  global
        .offset:         16
        .size:           8
        .value_kind:     global_buffer
      - .actual_access:  read_only
        .address_space:  global
        .offset:         24
        .size:           8
        .value_kind:     global_buffer
      - .offset:         32
        .size:           8
        .value_kind:     by_value
      - .actual_access:  read_only
        .address_space:  global
        .offset:         40
        .size:           8
        .value_kind:     global_buffer
      - .actual_access:  read_only
        .address_space:  global
        .offset:         48
        .size:           8
        .value_kind:     global_buffer
      - .offset:         56
        .size:           4
        .value_kind:     by_value
      - .actual_access:  read_only
        .address_space:  global
        .offset:         64
        .size:           8
        .value_kind:     global_buffer
      - .actual_access:  read_only
        .address_space:  global
        .offset:         72
        .size:           8
        .value_kind:     global_buffer
      - .address_space:  global
        .offset:         80
        .size:           8
        .value_kind:     global_buffer
    .group_segment_fixed_size: 0
    .kernarg_segment_align: 8
    .kernarg_segment_size: 88
    .language:       OpenCL C
    .language_version:
      - 2
      - 0
    .max_flat_workgroup_size: 256
    .name:           fft_rtc_fwd_len128_factors_16_8_wgs_256_tpt_16_halfLds_dp_ip_CI_sbrr_dirReg
    .private_segment_fixed_size: 0
    .sgpr_count:     28
    .sgpr_spill_count: 0
    .symbol:         fft_rtc_fwd_len128_factors_16_8_wgs_256_tpt_16_halfLds_dp_ip_CI_sbrr_dirReg.kd
    .uniform_work_group_size: 1
    .uses_dynamic_stack: false
    .vgpr_count:     100
    .vgpr_spill_count: 0
    .wavefront_size: 64
amdhsa.target:   amdgcn-amd-amdhsa--gfx906
amdhsa.version:
  - 1
  - 2
...

	.end_amdgpu_metadata
